;; amdgpu-corpus repo=ROCm/rocFFT kind=compiled arch=gfx1201 opt=O3
	.text
	.amdgcn_target "amdgcn-amd-amdhsa--gfx1201"
	.amdhsa_code_object_version 6
	.protected	bluestein_single_back_len105_dim1_sp_op_CI_CI ; -- Begin function bluestein_single_back_len105_dim1_sp_op_CI_CI
	.globl	bluestein_single_back_len105_dim1_sp_op_CI_CI
	.p2align	8
	.type	bluestein_single_back_len105_dim1_sp_op_CI_CI,@function
bluestein_single_back_len105_dim1_sp_op_CI_CI: ; @bluestein_single_back_len105_dim1_sp_op_CI_CI
; %bb.0:
	s_load_b128 s[8:11], s[0:1], 0x28
	v_mul_u32_u24_e32 v1, 0xc31, v0
	s_mov_b32 s2, exec_lo
	s_delay_alu instid0(VALU_DEP_1) | instskip(NEXT) | instid1(VALU_DEP_1)
	v_lshrrev_b32_e32 v1, 16, v1
	v_mad_co_u64_u32 v[28:29], null, ttmp9, 12, v[1:2]
	v_mov_b32_e32 v29, 0
	s_wait_kmcnt 0x0
	s_delay_alu instid0(VALU_DEP_1)
	v_cmpx_gt_u64_e64 s[8:9], v[28:29]
	s_cbranch_execz .LBB0_23
; %bb.1:
	v_mul_hi_u32 v2, 0xaaaaaaab, v28
	v_mul_lo_u16 v1, v1, 21
	s_clause 0x1
	s_load_b64 s[12:13], s[0:1], 0x0
	s_load_b64 s[8:9], s[0:1], 0x38
	s_delay_alu instid0(VALU_DEP_1) | instskip(NEXT) | instid1(VALU_DEP_3)
	v_sub_nc_u16 v0, v0, v1
	v_lshrrev_b32_e32 v2, 3, v2
	s_delay_alu instid0(VALU_DEP_2) | instskip(SKIP_1) | instid1(VALU_DEP_3)
	v_and_b32_e32 v31, 0xffff, v0
	v_cmp_gt_u16_e32 vcc_lo, 15, v0
	v_mul_lo_u32 v2, v2, 12
	s_delay_alu instid0(VALU_DEP_3) | instskip(NEXT) | instid1(VALU_DEP_2)
	v_lshlrev_b32_e32 v32, 3, v31
	v_sub_nc_u32_e32 v1, v28, v2
	s_delay_alu instid0(VALU_DEP_1) | instskip(NEXT) | instid1(VALU_DEP_1)
	v_mul_u32_u24_e32 v22, 0x69, v1
	v_lshlrev_b32_e32 v33, 3, v22
	s_and_saveexec_b32 s3, vcc_lo
	s_cbranch_execz .LBB0_3
; %bb.2:
	s_load_b64 s[4:5], s[0:1], 0x18
	s_delay_alu instid0(VALU_DEP_1)
	v_lshl_add_u32 v27, v31, 3, v33
	v_add_nc_u32_e32 v36, v33, v32
	s_wait_kmcnt 0x0
	s_load_b128 s[4:7], s[4:5], 0x0
	s_wait_kmcnt 0x0
	v_mad_co_u64_u32 v[0:1], null, s6, v28, 0
	v_mad_co_u64_u32 v[2:3], null, s4, v31, 0
	s_delay_alu instid0(VALU_DEP_1) | instskip(NEXT) | instid1(VALU_DEP_1)
	v_mad_co_u64_u32 v[4:5], null, s7, v28, v[1:2]
	v_mad_co_u64_u32 v[5:6], null, s5, v31, v[3:4]
	v_mov_b32_e32 v1, v4
	s_mul_u64 s[4:5], s[4:5], 0x78
	s_delay_alu instid0(VALU_DEP_1) | instskip(NEXT) | instid1(VALU_DEP_3)
	v_lshlrev_b64_e32 v[0:1], 3, v[0:1]
	v_mov_b32_e32 v3, v5
	s_delay_alu instid0(VALU_DEP_2) | instskip(NEXT) | instid1(VALU_DEP_2)
	v_add_co_u32 v10, s2, s10, v0
	v_lshlrev_b64_e32 v[2:3], 3, v[2:3]
	s_delay_alu instid0(VALU_DEP_4)
	v_add_co_ci_u32_e64 v11, s2, s11, v1, s2
	s_clause 0x4
	global_load_b64 v[0:1], v32, s[12:13]
	global_load_b64 v[4:5], v32, s[12:13] offset:120
	global_load_b64 v[6:7], v32, s[12:13] offset:240
	;; [unrolled: 1-line block ×4, first 2 shown]
	v_add_co_u32 v2, s2, v10, v2
	s_wait_alu 0xf1ff
	v_add_co_ci_u32_e64 v3, s2, v11, v3, s2
	s_wait_alu 0xfffe
	s_delay_alu instid0(VALU_DEP_2) | instskip(SKIP_1) | instid1(VALU_DEP_2)
	v_add_co_u32 v10, s2, v2, s4
	s_wait_alu 0xf1ff
	v_add_co_ci_u32_e64 v11, s2, s5, v3, s2
	global_load_b64 v[2:3], v[2:3], off
	v_add_co_u32 v14, s2, v10, s4
	s_wait_alu 0xf1ff
	v_add_co_ci_u32_e64 v15, s2, s5, v11, s2
	global_load_b64 v[10:11], v[10:11], off
	v_add_co_u32 v16, s2, v14, s4
	s_wait_alu 0xf1ff
	v_add_co_ci_u32_e64 v17, s2, s5, v15, s2
	s_delay_alu instid0(VALU_DEP_2) | instskip(SKIP_1) | instid1(VALU_DEP_2)
	v_add_co_u32 v18, s2, v16, s4
	s_wait_alu 0xf1ff
	v_add_co_ci_u32_e64 v19, s2, s5, v17, s2
	s_clause 0x1
	global_load_b64 v[14:15], v[14:15], off
	global_load_b64 v[16:17], v[16:17], off
	v_add_co_u32 v20, s2, v18, s4
	s_wait_alu 0xf1ff
	v_add_co_ci_u32_e64 v21, s2, s5, v19, s2
	global_load_b64 v[18:19], v[18:19], off
	v_add_co_u32 v23, s2, v20, s4
	s_wait_alu 0xf1ff
	v_add_co_ci_u32_e64 v24, s2, s5, v21, s2
	global_load_b64 v[20:21], v[20:21], off
	s_clause 0x1
	global_load_b64 v[25:26], v32, s[12:13] offset:600
	global_load_b64 v[29:30], v32, s[12:13] offset:720
	global_load_b64 v[23:24], v[23:24], off
	s_wait_loadcnt 0x8
	v_mul_f32_e32 v34, v3, v1
	v_mul_f32_e32 v35, v2, v1
	s_wait_loadcnt 0x7
	v_mul_f32_e32 v1, v11, v5
	v_mul_f32_e32 v5, v10, v5
	s_delay_alu instid0(VALU_DEP_2) | instskip(SKIP_1) | instid1(VALU_DEP_3)
	v_fmac_f32_e32 v1, v10, v4
	v_fmac_f32_e32 v34, v2, v0
	v_fma_f32 v2, v11, v4, -v5
	s_wait_loadcnt 0x5
	v_mul_f32_e32 v5, v17, v9
	v_mul_f32_e32 v9, v16, v9
	s_delay_alu instid0(VALU_DEP_2)
	v_fmac_f32_e32 v5, v16, v8
	s_wait_loadcnt 0x2
	v_mul_f32_e32 v10, v20, v26
	v_fma_f32 v35, v3, v0, -v35
	v_mul_f32_e32 v0, v14, v7
	v_mul_f32_e32 v3, v15, v7
	;; [unrolled: 1-line block ×3, first 2 shown]
	s_wait_loadcnt 0x0
	v_mul_f32_e32 v11, v24, v30
	v_fma_f32 v10, v21, v25, -v10
	v_fma_f32 v4, v15, v6, -v0
	v_mul_f32_e32 v0, v18, v13
	v_fmac_f32_e32 v3, v14, v6
	v_fma_f32 v6, v17, v8, -v9
	v_mul_f32_e32 v9, v21, v26
	v_mul_f32_e32 v13, v23, v30
	v_fmac_f32_e32 v7, v18, v12
	v_fma_f32 v8, v19, v12, -v0
	v_fmac_f32_e32 v11, v23, v29
	v_fmac_f32_e32 v9, v20, v25
	v_fma_f32 v12, v24, v29, -v13
	ds_store_b64 v27, v[34:35]
	ds_store_2addr_b64 v36, v[1:2], v[3:4] offset0:15 offset1:30
	ds_store_2addr_b64 v36, v[5:6], v[7:8] offset0:45 offset1:60
	;; [unrolled: 1-line block ×3, first 2 shown]
.LBB0_3:
	s_or_b32 exec_lo, exec_lo, s3
	v_mov_b32_e32 v2, 0
	v_mov_b32_e32 v3, 0
	s_delay_alu instid0(VALU_DEP_2)
	v_mov_b32_e32 v0, v2
	global_wb scope:SCOPE_SE
	s_wait_dscnt 0x0
	s_wait_kmcnt 0x0
	s_barrier_signal -1
	s_barrier_wait -1
	v_mov_b32_e32 v1, v3
	v_dual_mov_b32 v5, v3 :: v_dual_mov_b32 v4, v2
	v_dual_mov_b32 v9, v3 :: v_dual_mov_b32 v8, v2
	global_inv scope:SCOPE_SE
                                        ; implicit-def: $vgpr12
	s_and_saveexec_b32 s2, vcc_lo
	s_cbranch_execz .LBB0_5
; %bb.4:
	v_lshl_add_u32 v12, v22, 3, v32
	ds_load_2addr_b64 v[0:3], v12 offset1:15
	ds_load_2addr_b64 v[4:7], v12 offset0:30 offset1:45
	ds_load_2addr_b64 v[8:11], v12 offset0:60 offset1:75
	ds_load_b64 v[12:13], v12 offset:720
.LBB0_5:
	s_wait_alu 0xfffe
	s_or_b32 exec_lo, exec_lo, s2
	s_wait_dscnt 0x0
	v_dual_add_f32 v14, v12, v2 :: v_dual_add_f32 v15, v13, v3
	v_dual_sub_f32 v2, v2, v12 :: v_dual_sub_f32 v3, v3, v13
	v_dual_add_f32 v12, v10, v4 :: v_dual_add_f32 v13, v11, v5
	v_dual_sub_f32 v4, v4, v10 :: v_dual_sub_f32 v5, v5, v11
	;; [unrolled: 2-line block ×3, first 2 shown]
	s_delay_alu instid0(VALU_DEP_4) | instskip(SKIP_1) | instid1(VALU_DEP_4)
	v_dual_add_f32 v8, v14, v12 :: v_dual_add_f32 v9, v15, v13
	v_dual_sub_f32 v16, v12, v14 :: v_dual_sub_f32 v17, v13, v15
	v_dual_sub_f32 v14, v14, v10 :: v_dual_sub_f32 v15, v15, v11
	;; [unrolled: 1-line block ×3, first 2 shown]
	v_dual_add_f32 v18, v4, v6 :: v_dual_add_f32 v19, v5, v7
	v_dual_sub_f32 v20, v6, v4 :: v_dual_sub_f32 v21, v7, v5
	v_dual_sub_f32 v4, v4, v2 :: v_dual_add_f32 v9, v9, v11
	v_dual_add_f32 v8, v8, v10 :: v_dual_sub_f32 v5, v5, v3
	v_dual_sub_f32 v6, v2, v6 :: v_dual_sub_f32 v7, v3, v7
	v_dual_add_f32 v10, v2, v18 :: v_dual_add_f32 v11, v3, v19
	s_delay_alu instid0(VALU_DEP_3)
	v_dual_add_f32 v0, v8, v0 :: v_dual_add_f32 v1, v9, v1
	v_dual_mul_f32 v2, 0x3f4a47b2, v14 :: v_dual_mul_f32 v3, 0x3f4a47b2, v15
	v_dual_mul_f32 v12, 0x3d64c772, v12 :: v_dual_mul_f32 v13, 0x3d64c772, v13
	;; [unrolled: 1-line block ×3, first 2 shown]
	s_clause 0x1
	s_load_b64 s[4:5], s[0:1], 0x20
	s_load_b64 s[2:3], s[0:1], 0x8
	v_dual_mul_f32 v20, 0x3f5ff5aa, v4 :: v_dual_mul_f32 v21, 0x3f5ff5aa, v5
	v_dual_fmamk_f32 v8, v8, 0xbf955555, v0 :: v_dual_fmamk_f32 v9, v9, 0xbf955555, v1
	v_dual_fmamk_f32 v14, v14, 0x3f4a47b2, v12 :: v_dual_fmamk_f32 v15, v15, 0x3f4a47b2, v13
	v_fma_f32 v12, 0x3f3bfb3b, v16, -v12
	v_fma_f32 v13, 0x3f3bfb3b, v17, -v13
	;; [unrolled: 1-line block ×4, first 2 shown]
	v_dual_fmamk_f32 v2, v6, 0x3eae86e6, v18 :: v_dual_fmamk_f32 v3, v7, 0x3eae86e6, v19
	v_fma_f32 v18, 0x3f5ff5aa, v4, -v18
	v_fma_f32 v19, 0x3f5ff5aa, v5, -v19
	;; [unrolled: 1-line block ×4, first 2 shown]
	v_add_f32_e32 v7, v15, v9
	v_add_f32_e32 v15, v13, v9
	v_dual_add_f32 v9, v17, v9 :: v_dual_fmac_f32 v18, 0x3ee1c552, v10
	v_dual_add_f32 v5, v14, v8 :: v_dual_fmac_f32 v2, 0x3ee1c552, v10
	v_add_f32_e32 v14, v12, v8
	v_dual_add_f32 v8, v16, v8 :: v_dual_fmac_f32 v19, 0x3ee1c552, v11
	v_fmac_f32_e32 v6, 0x3ee1c552, v10
	v_dual_fmac_f32 v4, 0x3ee1c552, v11 :: v_dual_sub_f32 v17, v15, v18
	v_fmac_f32_e32 v3, 0x3ee1c552, v11
	s_delay_alu instid0(VALU_DEP_4)
	v_sub_f32_e32 v12, v14, v19
	v_add_f32_e32 v13, v18, v15
	v_add_f32_e32 v16, v14, v19
	v_dual_sub_f32 v14, v8, v4 :: v_dual_add_f32 v15, v6, v9
	v_sub_f32_e32 v18, v5, v3
	v_add_f32_e32 v19, v2, v7
	v_mul_lo_u16 v37, v31, 7
	global_wb scope:SCOPE_SE
	s_wait_kmcnt 0x0
	s_barrier_signal -1
	s_barrier_wait -1
	global_inv scope:SCOPE_SE
	s_and_saveexec_b32 s0, vcc_lo
	s_cbranch_execz .LBB0_7
; %bb.6:
	v_dual_sub_f32 v6, v9, v6 :: v_dual_and_b32 v11, 0xffff, v37
	v_dual_sub_f32 v10, v7, v2 :: v_dual_add_f32 v9, v5, v3
	v_add_f32_e32 v5, v8, v4
	s_delay_alu instid0(VALU_DEP_3)
	v_add_lshl_u32 v2, v22, v11, 3
	ds_store_2addr_b64 v2, v[0:1], v[9:10] offset1:1
	ds_store_2addr_b64 v2, v[5:6], v[12:13] offset0:2 offset1:3
	ds_store_2addr_b64 v2, v[16:17], v[14:15] offset0:4 offset1:5
	ds_store_b64 v2, v[18:19] offset:48
.LBB0_7:
	s_wait_alu 0xfffe
	s_or_b32 exec_lo, exec_lo, s0
	v_add_lshl_u32 v34, v22, v31, 3
	global_wb scope:SCOPE_SE
	s_wait_dscnt 0x0
	s_barrier_signal -1
	s_barrier_wait -1
	global_inv scope:SCOPE_SE
	ds_load_2addr_b64 v[8:11], v34 offset1:35
	ds_load_b64 v[20:21], v34 offset:560
	v_cmp_gt_u16_e64 s0, 14, v31
	s_delay_alu instid0(VALU_DEP_1)
	s_and_saveexec_b32 s1, s0
	s_cbranch_execz .LBB0_9
; %bb.8:
	ds_load_2addr_b64 v[0:3], v34 offset0:21 offset1:56
	ds_load_b64 v[14:15], v34 offset:728
	s_wait_dscnt 0x1
	v_dual_mov_b32 v12, v0 :: v_dual_mov_b32 v13, v1
	v_dual_mov_b32 v16, v2 :: v_dual_mov_b32 v17, v3
.LBB0_9:
	s_wait_alu 0xfffe
	s_or_b32 exec_lo, exec_lo, s1
	v_and_b32_e32 v0, 0xff, v31
	v_add_nc_u16 v1, v31, 21
	s_delay_alu instid0(VALU_DEP_2) | instskip(NEXT) | instid1(VALU_DEP_2)
	v_mul_lo_u16 v0, v0, 37
	v_and_b32_e32 v2, 0xff, v1
	s_delay_alu instid0(VALU_DEP_2) | instskip(NEXT) | instid1(VALU_DEP_2)
	v_lshrrev_b16 v0, 8, v0
	v_mul_lo_u16 v2, v2, 37
	s_delay_alu instid0(VALU_DEP_2) | instskip(NEXT) | instid1(VALU_DEP_2)
	v_sub_nc_u16 v3, v31, v0
	v_lshrrev_b16 v2, 8, v2
	s_delay_alu instid0(VALU_DEP_2) | instskip(NEXT) | instid1(VALU_DEP_2)
	v_lshrrev_b16 v3, 1, v3
	v_sub_nc_u16 v4, v1, v2
	s_delay_alu instid0(VALU_DEP_2) | instskip(NEXT) | instid1(VALU_DEP_2)
	v_and_b32_e32 v3, 0x7f, v3
	v_lshrrev_b16 v4, 1, v4
	s_delay_alu instid0(VALU_DEP_2) | instskip(NEXT) | instid1(VALU_DEP_2)
	v_add_nc_u16 v0, v3, v0
	v_and_b32_e32 v3, 0x7f, v4
	s_delay_alu instid0(VALU_DEP_2) | instskip(NEXT) | instid1(VALU_DEP_2)
	v_lshrrev_b16 v23, 2, v0
	v_add_nc_u16 v0, v3, v2
	s_delay_alu instid0(VALU_DEP_2) | instskip(NEXT) | instid1(VALU_DEP_2)
	v_mul_lo_u16 v2, v23, 7
	v_lshrrev_b16 v24, 2, v0
	s_delay_alu instid0(VALU_DEP_2) | instskip(NEXT) | instid1(VALU_DEP_2)
	v_sub_nc_u16 v25, v31, v2
	v_mul_lo_u16 v0, v24, 7
	s_delay_alu instid0(VALU_DEP_2) | instskip(NEXT) | instid1(VALU_DEP_2)
	v_lshlrev_b16 v2, 1, v25
	v_sub_nc_u16 v0, v1, v0
	v_mad_u16 v23, v23, 21, v25
	s_delay_alu instid0(VALU_DEP_3) | instskip(NEXT) | instid1(VALU_DEP_3)
	v_and_b32_e32 v1, 0xfe, v2
	v_and_b32_e32 v36, 0xff, v0
	s_delay_alu instid0(VALU_DEP_2) | instskip(NEXT) | instid1(VALU_DEP_2)
	v_lshlrev_b32_e32 v0, 3, v1
	v_lshlrev_b32_e32 v1, 4, v36
	s_clause 0x1
	global_load_b128 v[4:7], v0, s[2:3]
	global_load_b128 v[0:3], v1, s[2:3]
	v_and_b32_e32 v23, 0xff, v23
	v_and_b32_e32 v38, 0xffff, v24
	s_load_b128 s[4:7], s[4:5], 0x0
	global_wb scope:SCOPE_SE
	s_wait_loadcnt_dscnt 0x0
	s_wait_kmcnt 0x0
	s_barrier_signal -1
	s_barrier_wait -1
	global_inv scope:SCOPE_SE
	v_mul_f32_e32 v25, v11, v5
	v_dual_mul_f32 v26, v10, v5 :: v_dual_mul_f32 v27, v21, v7
	v_dual_mul_f32 v29, v20, v7 :: v_dual_mul_f32 v30, v17, v1
	v_mul_f32_e32 v24, v16, v1
	v_add_lshl_u32 v39, v22, v23, 3
	v_mul_f32_e32 v23, v14, v3
	v_mul_f32_e32 v35, v15, v3
	v_fma_f32 v25, v10, v4, -v25
	v_fmac_f32_e32 v26, v11, v4
	v_fma_f32 v20, v20, v6, -v27
	v_fma_f32 v11, v16, v0, -v30
	v_dual_fmac_f32 v24, v17, v0 :: v_dual_fmac_f32 v23, v15, v2
	v_fmac_f32_e32 v29, v21, v6
	v_fma_f32 v10, v14, v2, -v35
	v_dual_add_f32 v21, v9, v26 :: v_dual_add_f32 v16, v8, v25
	s_delay_alu instid0(VALU_DEP_4) | instskip(SKIP_1) | instid1(VALU_DEP_4)
	v_add_f32_e32 v40, v24, v23
	v_dual_sub_f32 v14, v24, v23 :: v_dual_add_f32 v17, v25, v20
	v_dual_sub_f32 v27, v26, v29 :: v_dual_add_f32 v30, v11, v10
	v_dual_add_f32 v26, v26, v29 :: v_dual_sub_f32 v35, v25, v20
	v_dual_sub_f32 v15, v11, v10 :: v_dual_add_f32 v20, v16, v20
	s_delay_alu instid0(VALU_DEP_4) | instskip(NEXT) | instid1(VALU_DEP_3)
	v_fma_f32 v25, -0.5, v17, v8
	v_fma_f32 v26, -0.5, v26, v9
	;; [unrolled: 1-line block ×4, first 2 shown]
	s_delay_alu instid0(VALU_DEP_2) | instskip(NEXT) | instid1(VALU_DEP_4)
	v_dual_fmamk_f32 v16, v14, 0xbf5db3d7, v8 :: v_dual_add_f32 v21, v21, v29
	v_fmamk_f32 v30, v35, 0xbf5db3d7, v26
	v_dual_fmamk_f32 v29, v27, 0x3f5db3d7, v25 :: v_dual_fmac_f32 v26, 0x3f5db3d7, v35
	s_delay_alu instid0(VALU_DEP_4)
	v_fmamk_f32 v17, v15, 0x3f5db3d7, v9
	v_fmac_f32_e32 v25, 0xbf5db3d7, v27
	ds_store_2addr_b64 v39, v[20:21], v[29:30] offset1:7
	ds_store_b64 v39, v[25:26] offset:112
	s_and_saveexec_b32 s1, s0
	s_cbranch_execz .LBB0_11
; %bb.10:
	v_mul_u32_u24_e32 v20, 21, v38
	v_dual_mul_f32 v15, 0x3f5db3d7, v15 :: v_dual_mul_f32 v14, 0x3f5db3d7, v14
	v_dual_add_f32 v13, v13, v24 :: v_dual_add_f32 v12, v12, v11
	s_delay_alu instid0(VALU_DEP_2) | instskip(NEXT) | instid1(VALU_DEP_2)
	v_dual_sub_f32 v9, v9, v15 :: v_dual_add_nc_u32 v20, v20, v36
	v_dual_add_f32 v8, v14, v8 :: v_dual_add_f32 v11, v13, v23
	s_delay_alu instid0(VALU_DEP_3) | instskip(NEXT) | instid1(VALU_DEP_3)
	v_add_f32_e32 v10, v12, v10
	v_add_lshl_u32 v12, v22, v20, 3
	ds_store_2addr_b64 v12, v[10:11], v[8:9] offset1:7
	ds_store_b64 v12, v[16:17] offset:112
.LBB0_11:
	s_wait_alu 0xfffe
	s_or_b32 exec_lo, exec_lo, s1
	v_lshlrev_b32_e32 v8, 5, v31
	global_wb scope:SCOPE_SE
	s_wait_dscnt 0x0
	s_barrier_signal -1
	s_barrier_wait -1
	global_inv scope:SCOPE_SE
	s_clause 0x1
	global_load_b128 v[12:15], v8, s[2:3] offset:112
	global_load_b128 v[8:11], v8, s[2:3] offset:128
	ds_load_2addr_b64 v[22:25], v34 offset0:21 offset1:42
	ds_load_2addr_b64 v[40:43], v34 offset0:63 offset1:84
	ds_load_b64 v[20:21], v34
	v_lshl_add_u32 v35, v31, 3, v33
	s_wait_loadcnt_dscnt 0x102
	v_mul_f32_e32 v27, v22, v13
	v_dual_mul_f32 v26, v23, v13 :: v_dual_mul_f32 v29, v25, v15
	v_mul_f32_e32 v30, v24, v15
	s_wait_loadcnt_dscnt 0x1
	v_dual_mul_f32 v44, v41, v9 :: v_dual_mul_f32 v47, v42, v11
	v_dual_mul_f32 v45, v40, v9 :: v_dual_mul_f32 v46, v43, v11
	v_fma_f32 v22, v22, v12, -v26
	v_fmac_f32_e32 v27, v23, v12
	v_fma_f32 v23, v24, v14, -v29
	v_fma_f32 v24, v40, v8, -v44
	v_fmac_f32_e32 v47, v43, v10
	v_fma_f32 v29, v42, v10, -v46
	v_fmac_f32_e32 v30, v25, v14
	v_dual_sub_f32 v42, v22, v23 :: v_dual_fmac_f32 v45, v41, v8
	s_wait_dscnt 0x0
	v_dual_sub_f32 v40, v27, v47 :: v_dual_add_f32 v25, v20, v22
	v_add_f32_e32 v26, v23, v24
	v_dual_sub_f32 v43, v29, v24 :: v_dual_add_f32 v44, v22, v29
	v_dual_sub_f32 v48, v24, v29 :: v_dual_add_f32 v49, v21, v27
	v_sub_f32_e32 v51, v22, v29
	v_dual_add_f32 v50, v30, v45 :: v_dual_sub_f32 v53, v27, v30
	v_dual_sub_f32 v54, v47, v45 :: v_dual_add_f32 v25, v25, v23
	v_add_f32_e32 v55, v27, v47
	v_dual_sub_f32 v41, v30, v45 :: v_dual_sub_f32 v46, v23, v22
	v_dual_sub_f32 v52, v23, v24 :: v_dual_sub_f32 v27, v30, v27
	v_sub_f32_e32 v56, v45, v47
	v_fma_f32 v22, -0.5, v26, v20
	v_fma_f32 v20, -0.5, v44, v20
	v_add_f32_e32 v30, v49, v30
	v_fma_f32 v23, -0.5, v50, v21
	v_dual_add_f32 v44, v53, v54 :: v_dual_fmac_f32 v21, -0.5, v55
	v_add_f32_e32 v42, v42, v43
	v_add_f32_e32 v43, v46, v48
	;; [unrolled: 1-line block ×3, first 2 shown]
	s_delay_alu instid0(VALU_DEP_4)
	v_dual_add_f32 v48, v25, v24 :: v_dual_fmamk_f32 v27, v52, 0x3f737871, v21
	v_fmamk_f32 v24, v40, 0x3f737871, v22
	v_fmac_f32_e32 v22, 0xbf737871, v40
	v_dual_fmamk_f32 v26, v41, 0xbf737871, v20 :: v_dual_fmac_f32 v21, 0xbf737871, v52
	v_fmac_f32_e32 v20, 0x3f737871, v41
	v_fmamk_f32 v25, v51, 0xbf737871, v23
	v_dual_fmac_f32 v23, 0x3f737871, v51 :: v_dual_add_f32 v30, v30, v45
	v_add_f32_e32 v29, v48, v29
	v_fmac_f32_e32 v24, 0x3f167918, v41
	v_dual_fmac_f32 v22, 0xbf167918, v41 :: v_dual_fmac_f32 v27, 0xbf167918, v51
	v_dual_fmac_f32 v26, 0x3f167918, v40 :: v_dual_fmac_f32 v21, 0x3f167918, v51
	v_fmac_f32_e32 v20, 0xbf167918, v40
	v_fmac_f32_e32 v25, 0xbf167918, v52
	v_dual_fmac_f32 v23, 0x3f167918, v52 :: v_dual_add_f32 v30, v30, v47
	v_fmac_f32_e32 v24, 0x3e9e377a, v42
	v_fmac_f32_e32 v22, 0x3e9e377a, v42
	v_dual_fmac_f32 v26, 0x3e9e377a, v43 :: v_dual_fmac_f32 v27, 0x3e9e377a, v46
	v_dual_fmac_f32 v20, 0x3e9e377a, v43 :: v_dual_fmac_f32 v21, 0x3e9e377a, v46
	v_fmac_f32_e32 v25, 0x3e9e377a, v44
	v_fmac_f32_e32 v23, 0x3e9e377a, v44
	ds_store_b64 v35, v[29:30]
	ds_store_2addr_b64 v35, v[24:25], v[26:27] offset0:21 offset1:42
	ds_store_2addr_b64 v35, v[20:21], v[22:23] offset0:63 offset1:84
	global_wb scope:SCOPE_SE
	s_wait_dscnt 0x0
	s_barrier_signal -1
	s_barrier_wait -1
	global_inv scope:SCOPE_SE
	s_and_saveexec_b32 s1, vcc_lo
	s_cbranch_execz .LBB0_13
; %bb.12:
	global_load_b64 v[40:41], v32, s[12:13] offset:840
	s_add_nc_u64 s[2:3], s[12:13], 0x348
	s_clause 0x5
	global_load_b64 v[52:53], v32, s[2:3] offset:120
	global_load_b64 v[54:55], v32, s[2:3] offset:240
	;; [unrolled: 1-line block ×6, first 2 shown]
	ds_load_b64 v[42:43], v35
	s_wait_loadcnt_dscnt 0x600
	v_mul_f32_e32 v44, v43, v41
	v_mul_f32_e32 v45, v42, v41
	s_delay_alu instid0(VALU_DEP_2) | instskip(NEXT) | instid1(VALU_DEP_2)
	v_fma_f32 v44, v42, v40, -v44
	v_fmac_f32_e32 v45, v43, v40
	ds_store_b64 v35, v[44:45]
	ds_load_2addr_b64 v[40:43], v35 offset0:15 offset1:30
	ds_load_2addr_b64 v[44:47], v35 offset0:45 offset1:60
	;; [unrolled: 1-line block ×3, first 2 shown]
	s_wait_loadcnt_dscnt 0x502
	v_mul_f32_e32 v64, v40, v53
	s_wait_loadcnt_dscnt 0x201
	v_dual_mul_f32 v65, v41, v53 :: v_dual_mul_f32 v68, v47, v59
	v_mul_f32_e32 v66, v43, v55
	v_mul_f32_e32 v53, v42, v55
	s_wait_loadcnt_dscnt 0x0
	v_dual_mul_f32 v67, v45, v57 :: v_dual_mul_f32 v70, v51, v63
	v_dual_mul_f32 v55, v44, v57 :: v_dual_fmac_f32 v64, v41, v52
	v_mul_f32_e32 v57, v46, v59
	v_mul_f32_e32 v69, v49, v61
	;; [unrolled: 1-line block ×4, first 2 shown]
	v_fma_f32 v63, v40, v52, -v65
	v_fma_f32 v52, v42, v54, -v66
	v_fmac_f32_e32 v53, v43, v54
	v_fma_f32 v54, v44, v56, -v67
	v_fmac_f32_e32 v55, v45, v56
	v_fma_f32 v56, v46, v58, -v68
	v_fmac_f32_e32 v57, v47, v58
	v_fma_f32 v58, v48, v60, -v69
	v_fmac_f32_e32 v59, v49, v60
	v_fma_f32 v60, v50, v62, -v70
	v_fmac_f32_e32 v61, v51, v62
	ds_store_2addr_b64 v35, v[63:64], v[52:53] offset0:15 offset1:30
	ds_store_2addr_b64 v35, v[54:55], v[56:57] offset0:45 offset1:60
	;; [unrolled: 1-line block ×3, first 2 shown]
.LBB0_13:
	s_wait_alu 0xfffe
	s_or_b32 exec_lo, exec_lo, s1
	global_wb scope:SCOPE_SE
	s_wait_dscnt 0x0
	s_barrier_signal -1
	s_barrier_wait -1
	global_inv scope:SCOPE_SE
	s_and_saveexec_b32 s1, vcc_lo
	s_cbranch_execz .LBB0_15
; %bb.14:
	ds_load_b64 v[29:30], v35
	ds_load_2addr_b64 v[24:27], v35 offset0:15 offset1:30
	ds_load_2addr_b64 v[20:23], v35 offset0:45 offset1:60
	;; [unrolled: 1-line block ×3, first 2 shown]
.LBB0_15:
	s_wait_alu 0xfffe
	s_or_b32 exec_lo, exec_lo, s1
	s_wait_dscnt 0x0
	v_dual_add_f32 v40, v18, v24 :: v_dual_add_f32 v41, v19, v25
	v_dual_sub_f32 v18, v24, v18 :: v_dual_sub_f32 v19, v25, v19
	v_dual_add_f32 v24, v16, v26 :: v_dual_add_f32 v25, v17, v27
	v_dual_sub_f32 v16, v26, v16 :: v_dual_sub_f32 v17, v27, v17
	;; [unrolled: 2-line block ×3, first 2 shown]
	s_delay_alu instid0(VALU_DEP_4) | instskip(SKIP_1) | instid1(VALU_DEP_4)
	v_dual_add_f32 v42, v24, v40 :: v_dual_add_f32 v43, v25, v41
	v_dual_sub_f32 v49, v24, v40 :: v_dual_sub_f32 v50, v25, v41
	v_dual_sub_f32 v40, v40, v26 :: v_dual_sub_f32 v41, v41, v27
	;; [unrolled: 1-line block ×3, first 2 shown]
	v_dual_add_f32 v44, v20, v16 :: v_dual_add_f32 v45, v21, v17
	v_dual_sub_f32 v46, v20, v16 :: v_dual_sub_f32 v51, v21, v17
	v_dual_sub_f32 v16, v16, v18 :: v_dual_sub_f32 v17, v17, v19
	v_add_f32_e32 v26, v26, v42
	v_add_f32_e32 v52, v27, v43
	v_dual_sub_f32 v22, v18, v20 :: v_dual_sub_f32 v23, v19, v21
	v_add_f32_e32 v48, v44, v18
	v_dual_add_f32 v44, v45, v19 :: v_dual_mul_f32 v27, 0x3f4a47b2, v40
	v_dual_add_f32 v20, v29, v26 :: v_dual_mul_f32 v47, 0x3d64c772, v25
	v_mul_f32_e32 v45, 0x3f4a47b2, v41
	v_add_f32_e32 v21, v30, v52
	v_mul_f32_e32 v29, 0x3d64c772, v24
	v_dual_mul_f32 v18, 0xbf5ff5aa, v16 :: v_dual_mul_f32 v19, 0xbf5ff5aa, v17
	v_fmamk_f32 v43, v26, 0xbf955555, v20
	v_fma_f32 v25, 0x3f3bfb3b, v50, -v47
	s_delay_alu instid0(VALU_DEP_4)
	v_fma_f32 v24, 0x3f3bfb3b, v49, -v29
	v_mul_f32_e32 v42, 0x3f08b237, v46
	v_fmamk_f32 v46, v52, 0xbf955555, v21
	v_fma_f32 v40, 0xbf3bfb3b, v49, -v27
	v_fma_f32 v49, 0xbf3bfb3b, v50, -v45
	v_mul_f32_e32 v30, 0x3f08b237, v51
	v_fma_f32 v41, 0x3eae86e6, v22, -v18
	v_fma_f32 v50, 0xbf5ff5aa, v16, -v42
	;; [unrolled: 1-line block ×3, first 2 shown]
	v_add_f32_e32 v49, v49, v46
	v_fma_f32 v16, 0xbf5ff5aa, v17, -v30
	v_dual_add_f32 v18, v25, v46 :: v_dual_fmac_f32 v41, 0xbee1c552, v48
	v_dual_add_f32 v17, v24, v43 :: v_dual_fmac_f32 v50, 0xbee1c552, v48
	v_fmac_f32_e32 v26, 0xbee1c552, v44
	global_wb scope:SCOPE_SE
	v_dual_add_f32 v19, v41, v49 :: v_dual_add_f32 v40, v40, v43
	v_dual_add_f32 v25, v50, v18 :: v_dual_fmac_f32 v16, 0xbee1c552, v44
	s_barrier_signal -1
	s_barrier_wait -1
	global_inv scope:SCOPE_SE
	v_sub_f32_e32 v24, v17, v16
	v_dual_add_f32 v16, v16, v17 :: v_dual_sub_f32 v17, v18, v50
	v_sub_f32_e32 v18, v40, v26
	s_and_saveexec_b32 s1, vcc_lo
	s_cbranch_execz .LBB0_17
; %bb.16:
	v_dual_mul_f32 v22, 0xbeae86e6, v22 :: v_dual_mul_f32 v23, 0xbeae86e6, v23
	v_dual_mul_f32 v48, 0xbee1c552, v48 :: v_dual_add_f32 v45, v47, v45
	v_dual_mul_f32 v44, 0xbee1c552, v44 :: v_dual_add_f32 v27, v29, v27
	s_delay_alu instid0(VALU_DEP_3) | instskip(NEXT) | instid1(VALU_DEP_3)
	v_add_f32_e32 v22, v42, v22
	v_dual_add_f32 v23, v30, v23 :: v_dual_add_f32 v42, v45, v46
	s_delay_alu instid0(VALU_DEP_3) | instskip(NEXT) | instid1(VALU_DEP_3)
	v_add_f32_e32 v43, v27, v43
	v_dual_add_f32 v27, v48, v22 :: v_dual_and_b32 v22, 0xffff, v37
	s_delay_alu instid0(VALU_DEP_3) | instskip(NEXT) | instid1(VALU_DEP_2)
	v_dual_add_f32 v44, v44, v23 :: v_dual_sub_f32 v23, v49, v41
	v_sub_f32_e32 v30, v42, v27
	s_delay_alu instid0(VALU_DEP_3) | instskip(NEXT) | instid1(VALU_DEP_3)
	v_lshl_add_u32 v37, v22, 3, v33
	v_add_f32_e32 v29, v43, v44
	v_dual_add_f32 v22, v26, v40 :: v_dual_add_f32 v27, v27, v42
	v_sub_f32_e32 v26, v43, v44
	ds_store_2addr_b64 v37, v[20:21], v[29:30] offset1:1
	ds_store_2addr_b64 v37, v[22:23], v[24:25] offset0:2 offset1:3
	ds_store_2addr_b64 v37, v[16:17], v[18:19] offset0:4 offset1:5
	ds_store_b64 v37, v[26:27] offset:48
.LBB0_17:
	s_wait_alu 0xfffe
	s_or_b32 exec_lo, exec_lo, s1
	global_wb scope:SCOPE_SE
	s_wait_dscnt 0x0
	s_barrier_signal -1
	s_barrier_wait -1
	global_inv scope:SCOPE_SE
	ds_load_2addr_b64 v[20:23], v34 offset1:35
	ds_load_b64 v[26:27], v34 offset:560
	s_and_saveexec_b32 s1, s0
	s_cbranch_execz .LBB0_19
; %bb.18:
	ds_load_b64 v[24:25], v34 offset:168
	ds_load_2addr_b64 v[16:19], v34 offset0:56 offset1:91
.LBB0_19:
	s_wait_alu 0xfffe
	s_or_b32 exec_lo, exec_lo, s1
	s_wait_dscnt 0x0
	v_mul_f32_e32 v30, v7, v27
	v_mul_f32_e32 v29, v5, v23
	;; [unrolled: 1-line block ×3, first 2 shown]
	global_wb scope:SCOPE_SE
	s_barrier_signal -1
	v_fmac_f32_e32 v30, v6, v26
	v_fmac_f32_e32 v29, v4, v22
	v_mul_f32_e32 v7, v7, v26
	v_fma_f32 v4, v4, v23, -v5
	s_barrier_wait -1
	global_inv scope:SCOPE_SE
	v_fma_f32 v7, v6, v27, -v7
	v_add_f32_e32 v26, v21, v4
	v_dual_add_f32 v6, v20, v29 :: v_dual_add_f32 v5, v29, v30
	s_delay_alu instid0(VALU_DEP_3) | instskip(NEXT) | instid1(VALU_DEP_2)
	v_add_f32_e32 v22, v4, v7
	v_dual_sub_f32 v23, v4, v7 :: v_dual_add_f32 v6, v6, v30
	s_delay_alu instid0(VALU_DEP_3) | instskip(SKIP_1) | instid1(VALU_DEP_4)
	v_fma_f32 v4, -0.5, v5, v20
	v_sub_f32_e32 v27, v29, v30
	v_fma_f32 v5, -0.5, v22, v21
	s_delay_alu instid0(VALU_DEP_3) | instskip(NEXT) | instid1(VALU_DEP_2)
	v_dual_add_f32 v7, v26, v7 :: v_dual_fmamk_f32 v20, v23, 0xbf5db3d7, v4
	v_dual_fmac_f32 v4, 0x3f5db3d7, v23 :: v_dual_fmamk_f32 v21, v27, 0x3f5db3d7, v5
	v_fmac_f32_e32 v5, 0xbf5db3d7, v27
	ds_store_2addr_b64 v39, v[6:7], v[20:21] offset1:7
	ds_store_b64 v39, v[4:5] offset:112
	s_and_saveexec_b32 s1, s0
	s_cbranch_execz .LBB0_21
; %bb.20:
	v_dual_mul_f32 v4, v1, v17 :: v_dual_mul_f32 v5, v3, v18
	v_dual_mul_f32 v1, v1, v16 :: v_dual_mul_f32 v6, v3, v19
	v_mul_u32_u24_e32 v7, 21, v38
	s_delay_alu instid0(VALU_DEP_3) | instskip(NEXT) | instid1(VALU_DEP_3)
	v_fma_f32 v5, v2, v19, -v5
	v_fma_f32 v3, v0, v17, -v1
	v_fmac_f32_e32 v4, v0, v16
	s_delay_alu instid0(VALU_DEP_4) | instskip(NEXT) | instid1(VALU_DEP_1)
	v_dual_fmac_f32 v6, v2, v18 :: v_dual_add_nc_u32 v7, v7, v36
	v_dual_sub_f32 v17, v3, v5 :: v_dual_sub_f32 v16, v4, v6
	v_add_f32_e32 v0, v5, v3
	s_delay_alu instid0(VALU_DEP_1) | instskip(NEXT) | instid1(VALU_DEP_1)
	v_fma_f32 v1, -0.5, v0, v25
	v_dual_add_f32 v18, v25, v3 :: v_dual_fmamk_f32 v3, v16, 0x3f5db3d7, v1
	v_fmac_f32_e32 v1, 0xbf5db3d7, v16
	s_delay_alu instid0(VALU_DEP_2) | instskip(SKIP_1) | instid1(VALU_DEP_2)
	v_dual_add_f32 v2, v6, v4 :: v_dual_add_f32 v5, v5, v18
	v_add_f32_e32 v4, v24, v4
	v_fma_f32 v0, -0.5, v2, v24
	s_delay_alu instid0(VALU_DEP_2) | instskip(SKIP_1) | instid1(VALU_DEP_3)
	v_add_f32_e32 v4, v6, v4
	v_lshl_add_u32 v6, v7, 3, v33
	v_fmamk_f32 v2, v17, 0xbf5db3d7, v0
	v_fmac_f32_e32 v0, 0x3f5db3d7, v17
	ds_store_2addr_b64 v6, v[4:5], v[2:3] offset1:7
	ds_store_b64 v6, v[0:1] offset:112
.LBB0_21:
	s_wait_alu 0xfffe
	s_or_b32 exec_lo, exec_lo, s1
	global_wb scope:SCOPE_SE
	s_wait_dscnt 0x0
	s_barrier_signal -1
	s_barrier_wait -1
	global_inv scope:SCOPE_SE
	ds_load_2addr_b64 v[0:3], v34 offset0:21 offset1:42
	ds_load_2addr_b64 v[4:7], v34 offset0:63 offset1:84
	ds_load_b64 v[16:17], v34
	s_wait_dscnt 0x2
	v_dual_mul_f32 v18, v13, v1 :: v_dual_mul_f32 v19, v15, v3
	s_wait_dscnt 0x1
	v_dual_mul_f32 v15, v15, v2 :: v_dual_mul_f32 v20, v9, v5
	s_delay_alu instid0(VALU_DEP_2) | instskip(NEXT) | instid1(VALU_DEP_2)
	v_dual_mul_f32 v21, v11, v7 :: v_dual_fmac_f32 v18, v12, v0
	v_dual_mul_f32 v11, v11, v6 :: v_dual_fmac_f32 v20, v8, v4
	s_delay_alu instid0(VALU_DEP_2) | instskip(SKIP_2) | instid1(VALU_DEP_4)
	v_fmac_f32_e32 v21, v10, v6
	v_mul_f32_e32 v9, v9, v4
	v_fmac_f32_e32 v19, v14, v2
	v_fma_f32 v7, v10, v7, -v11
	s_delay_alu instid0(VALU_DEP_4) | instskip(NEXT) | instid1(VALU_DEP_3)
	v_sub_f32_e32 v4, v21, v20
	v_dual_mul_f32 v13, v13, v0 :: v_dual_sub_f32 v2, v18, v19
	v_add_f32_e32 v0, v19, v20
	v_add_f32_e32 v6, v18, v21
	v_fma_f32 v8, v8, v5, -v9
	s_delay_alu instid0(VALU_DEP_4)
	v_fma_f32 v12, v12, v1, -v13
	v_fma_f32 v13, v14, v3, -v15
	s_wait_dscnt 0x0
	v_add_f32_e32 v1, v16, v18
	v_fma_f32 v0, -0.5, v0, v16
	v_sub_f32_e32 v10, v20, v21
	v_dual_sub_f32 v3, v12, v7 :: v_dual_add_f32 v22, v2, v4
	v_sub_f32_e32 v5, v13, v8
	v_add_f32_e32 v11, v17, v12
	v_add_f32_e32 v14, v13, v8
	s_delay_alu instid0(VALU_DEP_4)
	v_fmamk_f32 v2, v3, 0xbf737871, v0
	v_sub_f32_e32 v9, v19, v18
	v_dual_sub_f32 v15, v18, v21 :: v_dual_fmac_f32 v0, 0x3f737871, v3
	v_add_f32_e32 v18, v1, v19
	v_fma_f32 v16, -0.5, v6, v16
	v_fma_f32 v1, -0.5, v14, v17
	v_fmac_f32_e32 v2, 0xbf167918, v5
	v_fmac_f32_e32 v0, 0x3f167918, v5
	v_add_f32_e32 v6, v18, v20
	v_fmamk_f32 v4, v5, 0x3f737871, v16
	v_dual_fmac_f32 v16, 0xbf737871, v5 :: v_dual_add_f32 v5, v9, v10
	v_add_f32_e32 v9, v11, v13
	v_dual_sub_f32 v11, v19, v20 :: v_dual_add_f32 v10, v12, v7
	v_add_f32_e32 v6, v6, v21
	v_fmac_f32_e32 v4, 0xbf167918, v3
	v_sub_f32_e32 v14, v7, v8
	v_add_f32_e32 v9, v9, v8
	v_dual_fmac_f32 v17, -0.5, v10 :: v_dual_fmac_f32 v16, 0x3f167918, v3
	v_fmamk_f32 v3, v15, 0x3f737871, v1
	v_dual_fmac_f32 v1, 0xbf737871, v15 :: v_dual_sub_f32 v10, v12, v13
	v_sub_f32_e32 v12, v13, v12
	v_sub_f32_e32 v8, v8, v7
	s_delay_alu instid0(VALU_DEP_4) | instskip(NEXT) | instid1(VALU_DEP_4)
	v_fmac_f32_e32 v3, 0x3f167918, v11
	v_dual_fmac_f32 v1, 0xbf167918, v11 :: v_dual_add_f32 v10, v10, v14
	v_fmac_f32_e32 v4, 0x3e9e377a, v5
	v_fmac_f32_e32 v16, 0x3e9e377a, v5
	v_fmamk_f32 v5, v11, 0xbf737871, v17
	v_fmac_f32_e32 v17, 0x3f737871, v11
	v_dual_fmac_f32 v1, 0x3e9e377a, v10 :: v_dual_add_f32 v8, v12, v8
	v_dual_fmac_f32 v2, 0x3e9e377a, v22 :: v_dual_add_f32 v7, v9, v7
	s_delay_alu instid0(VALU_DEP_4) | instskip(NEXT) | instid1(VALU_DEP_4)
	v_fmac_f32_e32 v5, 0x3f167918, v15
	v_fmac_f32_e32 v17, 0xbf167918, v15
	;; [unrolled: 1-line block ×4, first 2 shown]
	s_delay_alu instid0(VALU_DEP_4) | instskip(NEXT) | instid1(VALU_DEP_4)
	v_fmac_f32_e32 v5, 0x3e9e377a, v8
	v_fmac_f32_e32 v17, 0x3e9e377a, v8
	ds_store_b64 v35, v[6:7]
	ds_store_2addr_b64 v35, v[2:3], v[4:5] offset0:21 offset1:42
	ds_store_2addr_b64 v35, v[16:17], v[0:1] offset0:63 offset1:84
	global_wb scope:SCOPE_SE
	s_wait_dscnt 0x0
	s_barrier_signal -1
	s_barrier_wait -1
	global_inv scope:SCOPE_SE
	s_and_b32 exec_lo, exec_lo, vcc_lo
	s_cbranch_execz .LBB0_23
; %bb.22:
	s_clause 0x6
	global_load_b64 v[12:13], v32, s[12:13]
	global_load_b64 v[14:15], v32, s[12:13] offset:120
	global_load_b64 v[16:17], v32, s[12:13] offset:240
	;; [unrolled: 1-line block ×6, first 2 shown]
	ds_load_b64 v[26:27], v35
	ds_load_2addr_b64 v[0:3], v35 offset0:15 offset1:30
	ds_load_2addr_b64 v[4:7], v35 offset0:45 offset1:60
	ds_load_2addr_b64 v[8:11], v35 offset0:75 offset1:90
	s_mov_b32 s0, 0x13813814
	s_mov_b32 s1, 0x3f838138
	s_wait_loadcnt_dscnt 0x502
	v_dual_mul_f32 v29, v27, v13 :: v_dual_mul_f32 v30, v1, v15
	v_mul_f32_e32 v13, v26, v13
	s_wait_loadcnt 0x4
	v_dual_mul_f32 v15, v0, v15 :: v_dual_mul_f32 v32, v3, v17
	v_mul_f32_e32 v17, v2, v17
	s_wait_loadcnt_dscnt 0x201
	v_dual_mul_f32 v33, v5, v19 :: v_dual_mul_f32 v34, v7, v21
	s_wait_loadcnt_dscnt 0x0
	v_dual_mul_f32 v19, v4, v19 :: v_dual_mul_f32 v36, v11, v25
	v_mul_f32_e32 v21, v6, v21
	v_dual_mul_f32 v35, v9, v23 :: v_dual_fmac_f32 v32, v2, v16
	v_dual_mul_f32 v23, v8, v23 :: v_dual_fmac_f32 v34, v6, v20
	v_dual_fmac_f32 v29, v26, v12 :: v_dual_fmac_f32 v30, v0, v14
	v_fma_f32 v12, v12, v27, -v13
	v_mul_f32_e32 v25, v10, v25
	v_fma_f32 v13, v14, v1, -v15
	v_fma_f32 v14, v16, v3, -v17
	v_dual_fmac_f32 v33, v4, v18 :: v_dual_fmac_f32 v36, v10, v24
	v_fma_f32 v15, v18, v5, -v19
	v_fma_f32 v18, v20, v7, -v21
	v_fmac_f32_e32 v35, v8, v22
	v_fma_f32 v22, v22, v9, -v23
	v_cvt_f64_f32_e32 v[0:1], v29
	v_cvt_f64_f32_e32 v[2:3], v12
	v_fma_f32 v26, v24, v11, -v25
	v_cvt_f64_f32_e32 v[4:5], v30
	v_cvt_f64_f32_e32 v[6:7], v13
	;; [unrolled: 1-line block ×12, first 2 shown]
	v_mad_co_u64_u32 v[29:30], null, s6, v28, 0
	v_mad_co_u64_u32 v[32:33], null, s4, v31, 0
	s_delay_alu instid0(VALU_DEP_2) | instskip(NEXT) | instid1(VALU_DEP_1)
	v_mad_co_u64_u32 v[34:35], null, s7, v28, v[30:31]
	v_mov_b32_e32 v30, v34
	s_delay_alu instid0(VALU_DEP_3) | instskip(NEXT) | instid1(VALU_DEP_2)
	v_mad_co_u64_u32 v[35:36], null, s5, v31, v[33:34]
	v_lshlrev_b64_e32 v[28:29], 3, v[29:30]
	s_wait_alu 0xfffe
	v_mul_f64_e32 v[0:1], s[0:1], v[0:1]
	v_mul_f64_e32 v[2:3], s[0:1], v[2:3]
	s_delay_alu instid0(VALU_DEP_4)
	v_mov_b32_e32 v33, v35
	v_mul_f64_e32 v[4:5], s[0:1], v[4:5]
	v_mul_f64_e32 v[6:7], s[0:1], v[6:7]
	;; [unrolled: 1-line block ×12, first 2 shown]
	v_lshlrev_b64_e32 v[30:31], 3, v[32:33]
	v_add_co_u32 v28, vcc_lo, s8, v28
	v_add_co_ci_u32_e32 v29, vcc_lo, s9, v29, vcc_lo
	s_mul_u64 s[0:1], s[4:5], 0x78
	v_cvt_f32_f64_e32 v0, v[0:1]
	v_cvt_f32_f64_e32 v1, v[2:3]
	;; [unrolled: 1-line block ×14, first 2 shown]
	v_add_co_u32 v14, vcc_lo, v28, v30
	s_wait_alu 0xfffd
	v_add_co_ci_u32_e32 v15, vcc_lo, v29, v31, vcc_lo
	s_wait_alu 0xfffe
	s_delay_alu instid0(VALU_DEP_2) | instskip(SKIP_1) | instid1(VALU_DEP_2)
	v_add_co_u32 v16, vcc_lo, v14, s0
	s_wait_alu 0xfffd
	v_add_co_ci_u32_e32 v17, vcc_lo, s1, v15, vcc_lo
	s_delay_alu instid0(VALU_DEP_2) | instskip(SKIP_1) | instid1(VALU_DEP_2)
	v_add_co_u32 v18, vcc_lo, v16, s0
	s_wait_alu 0xfffd
	v_add_co_ci_u32_e32 v19, vcc_lo, s1, v17, vcc_lo
	;; [unrolled: 4-line block ×6, first 2 shown]
	s_clause 0x4
	global_store_b64 v[14:15], v[0:1], off
	global_store_b64 v[16:17], v[2:3], off
	;; [unrolled: 1-line block ×7, first 2 shown]
.LBB0_23:
	s_nop 0
	s_sendmsg sendmsg(MSG_DEALLOC_VGPRS)
	s_endpgm
	.section	.rodata,"a",@progbits
	.p2align	6, 0x0
	.amdhsa_kernel bluestein_single_back_len105_dim1_sp_op_CI_CI
		.amdhsa_group_segment_fixed_size 10080
		.amdhsa_private_segment_fixed_size 0
		.amdhsa_kernarg_size 104
		.amdhsa_user_sgpr_count 2
		.amdhsa_user_sgpr_dispatch_ptr 0
		.amdhsa_user_sgpr_queue_ptr 0
		.amdhsa_user_sgpr_kernarg_segment_ptr 1
		.amdhsa_user_sgpr_dispatch_id 0
		.amdhsa_user_sgpr_private_segment_size 0
		.amdhsa_wavefront_size32 1
		.amdhsa_uses_dynamic_stack 0
		.amdhsa_enable_private_segment 0
		.amdhsa_system_sgpr_workgroup_id_x 1
		.amdhsa_system_sgpr_workgroup_id_y 0
		.amdhsa_system_sgpr_workgroup_id_z 0
		.amdhsa_system_sgpr_workgroup_info 0
		.amdhsa_system_vgpr_workitem_id 0
		.amdhsa_next_free_vgpr 71
		.amdhsa_next_free_sgpr 14
		.amdhsa_reserve_vcc 1
		.amdhsa_float_round_mode_32 0
		.amdhsa_float_round_mode_16_64 0
		.amdhsa_float_denorm_mode_32 3
		.amdhsa_float_denorm_mode_16_64 3
		.amdhsa_fp16_overflow 0
		.amdhsa_workgroup_processor_mode 1
		.amdhsa_memory_ordered 1
		.amdhsa_forward_progress 0
		.amdhsa_round_robin_scheduling 0
		.amdhsa_exception_fp_ieee_invalid_op 0
		.amdhsa_exception_fp_denorm_src 0
		.amdhsa_exception_fp_ieee_div_zero 0
		.amdhsa_exception_fp_ieee_overflow 0
		.amdhsa_exception_fp_ieee_underflow 0
		.amdhsa_exception_fp_ieee_inexact 0
		.amdhsa_exception_int_div_zero 0
	.end_amdhsa_kernel
	.text
.Lfunc_end0:
	.size	bluestein_single_back_len105_dim1_sp_op_CI_CI, .Lfunc_end0-bluestein_single_back_len105_dim1_sp_op_CI_CI
                                        ; -- End function
	.section	.AMDGPU.csdata,"",@progbits
; Kernel info:
; codeLenInByte = 5760
; NumSgprs: 16
; NumVgprs: 71
; ScratchSize: 0
; MemoryBound: 0
; FloatMode: 240
; IeeeMode: 1
; LDSByteSize: 10080 bytes/workgroup (compile time only)
; SGPRBlocks: 1
; VGPRBlocks: 8
; NumSGPRsForWavesPerEU: 16
; NumVGPRsForWavesPerEU: 71
; Occupancy: 16
; WaveLimiterHint : 1
; COMPUTE_PGM_RSRC2:SCRATCH_EN: 0
; COMPUTE_PGM_RSRC2:USER_SGPR: 2
; COMPUTE_PGM_RSRC2:TRAP_HANDLER: 0
; COMPUTE_PGM_RSRC2:TGID_X_EN: 1
; COMPUTE_PGM_RSRC2:TGID_Y_EN: 0
; COMPUTE_PGM_RSRC2:TGID_Z_EN: 0
; COMPUTE_PGM_RSRC2:TIDIG_COMP_CNT: 0
	.text
	.p2alignl 7, 3214868480
	.fill 96, 4, 3214868480
	.type	__hip_cuid_21d7379f401d7263,@object ; @__hip_cuid_21d7379f401d7263
	.section	.bss,"aw",@nobits
	.globl	__hip_cuid_21d7379f401d7263
__hip_cuid_21d7379f401d7263:
	.byte	0                               ; 0x0
	.size	__hip_cuid_21d7379f401d7263, 1

	.ident	"AMD clang version 19.0.0git (https://github.com/RadeonOpenCompute/llvm-project roc-6.4.0 25133 c7fe45cf4b819c5991fe208aaa96edf142730f1d)"
	.section	".note.GNU-stack","",@progbits
	.addrsig
	.addrsig_sym __hip_cuid_21d7379f401d7263
	.amdgpu_metadata
---
amdhsa.kernels:
  - .args:
      - .actual_access:  read_only
        .address_space:  global
        .offset:         0
        .size:           8
        .value_kind:     global_buffer
      - .actual_access:  read_only
        .address_space:  global
        .offset:         8
        .size:           8
        .value_kind:     global_buffer
      - .actual_access:  read_only
        .address_space:  global
        .offset:         16
        .size:           8
        .value_kind:     global_buffer
      - .actual_access:  read_only
        .address_space:  global
        .offset:         24
        .size:           8
        .value_kind:     global_buffer
      - .actual_access:  read_only
        .address_space:  global
        .offset:         32
        .size:           8
        .value_kind:     global_buffer
      - .offset:         40
        .size:           8
        .value_kind:     by_value
      - .address_space:  global
        .offset:         48
        .size:           8
        .value_kind:     global_buffer
      - .address_space:  global
        .offset:         56
        .size:           8
        .value_kind:     global_buffer
      - .address_space:  global
        .offset:         64
        .size:           8
        .value_kind:     global_buffer
      - .address_space:  global
        .offset:         72
        .size:           8
        .value_kind:     global_buffer
      - .offset:         80
        .size:           4
        .value_kind:     by_value
      - .address_space:  global
        .offset:         88
        .size:           8
        .value_kind:     global_buffer
      - .address_space:  global
        .offset:         96
        .size:           8
        .value_kind:     global_buffer
    .group_segment_fixed_size: 10080
    .kernarg_segment_align: 8
    .kernarg_segment_size: 104
    .language:       OpenCL C
    .language_version:
      - 2
      - 0
    .max_flat_workgroup_size: 252
    .name:           bluestein_single_back_len105_dim1_sp_op_CI_CI
    .private_segment_fixed_size: 0
    .sgpr_count:     16
    .sgpr_spill_count: 0
    .symbol:         bluestein_single_back_len105_dim1_sp_op_CI_CI.kd
    .uniform_work_group_size: 1
    .uses_dynamic_stack: false
    .vgpr_count:     71
    .vgpr_spill_count: 0
    .wavefront_size: 32
    .workgroup_processor_mode: 1
amdhsa.target:   amdgcn-amd-amdhsa--gfx1201
amdhsa.version:
  - 1
  - 2
...

	.end_amdgpu_metadata
